;; amdgpu-corpus repo=ROCm/rocFFT kind=compiled arch=gfx906 opt=O3
	.text
	.amdgcn_target "amdgcn-amd-amdhsa--gfx906"
	.amdhsa_code_object_version 6
	.protected	bluestein_single_fwd_len24_dim1_sp_op_CI_CI ; -- Begin function bluestein_single_fwd_len24_dim1_sp_op_CI_CI
	.globl	bluestein_single_fwd_len24_dim1_sp_op_CI_CI
	.p2align	8
	.type	bluestein_single_fwd_len24_dim1_sp_op_CI_CI,@function
bluestein_single_fwd_len24_dim1_sp_op_CI_CI: ; @bluestein_single_fwd_len24_dim1_sp_op_CI_CI
; %bb.0:
	s_load_dwordx4 s[0:3], s[4:5], 0x28
	v_lshrrev_b32_e32 v1, 3, v0
	v_lshl_or_b32 v20, s6, 5, v1
	v_mov_b32_e32 v21, 0
	s_waitcnt lgkmcnt(0)
	v_cmp_gt_u64_e32 vcc, s[0:1], v[20:21]
	s_and_saveexec_b64 s[0:1], vcc
	s_cbranch_execz .LBB0_15
; %bb.1:
	s_load_dwordx2 s[12:13], s[4:5], 0x0
	s_load_dwordx2 s[6:7], s[4:5], 0x38
	v_and_b32_e32 v22, 7, v0
	v_mul_u32_u24_e32 v24, 24, v1
	v_cmp_gt_u32_e32 vcc, 3, v22
	v_lshlrev_b32_e32 v23, 3, v22
	v_or_b32_e32 v16, v24, v22
	v_add_lshl_u32 v0, v24, v22, 3
	v_or_b32_e32 v21, 12, v22
	s_and_saveexec_b64 s[14:15], vcc
	s_cbranch_execz .LBB0_3
; %bb.2:
	s_load_dwordx2 s[0:1], s[4:5], 0x18
	v_lshlrev_b32_e32 v19, 3, v16
	v_lshl_add_u32 v43, v24, 3, v23
	s_waitcnt lgkmcnt(0)
	s_load_dwordx4 s[8:11], s[0:1], 0x0
	s_waitcnt lgkmcnt(0)
	v_mad_u64_u32 v[1:2], s[0:1], s10, v20, 0
	v_mad_u64_u32 v[3:4], s[0:1], s8, v22, 0
	;; [unrolled: 1-line block ×4, first 2 shown]
	v_mov_b32_e32 v2, v5
	v_lshlrev_b64 v[1:2], 3, v[1:2]
	v_mov_b32_e32 v4, v6
	v_mov_b32_e32 v7, s3
	v_lshlrev_b64 v[3:4], 3, v[3:4]
	v_add_co_u32_e64 v14, s[0:1], s2, v1
	v_addc_co_u32_e64 v15, s[0:1], v7, v2, s[0:1]
	v_add_co_u32_e64 v1, s[0:1], v14, v3
	v_addc_co_u32_e64 v2, s[0:1], v15, v4, s[0:1]
	s_mul_i32 s0, s9, 24
	s_mul_hi_u32 s1, s8, 24
	s_add_i32 s2, s1, s0
	s_mul_i32 s3, s8, 24
	v_mov_b32_e32 v4, s2
	v_add_co_u32_e64 v3, s[0:1], s3, v1
	v_addc_co_u32_e64 v4, s[0:1], v2, v4, s[0:1]
	v_mad_u64_u32 v[5:6], s[0:1], s8, v21, 0
	v_mov_b32_e32 v8, s2
	v_add_co_u32_e64 v7, s[0:1], s3, v3
	v_addc_co_u32_e64 v8, s[0:1], v4, v8, s[0:1]
	v_mad_u64_u32 v[9:10], s[0:1], s9, v21, v[6:7]
	global_load_dwordx2 v[10:11], v23, s[12:13]
	global_load_dwordx2 v[12:13], v[1:2], off
	v_mov_b32_e32 v17, s2
	v_mov_b32_e32 v6, v9
	v_lshlrev_b64 v[1:2], 3, v[5:6]
	v_mov_b32_e32 v9, s2
	v_add_co_u32_e64 v1, s[0:1], v14, v1
	v_addc_co_u32_e64 v2, s[0:1], v15, v2, s[0:1]
	global_load_dwordx2 v[5:6], v[1:2], off
	global_load_dwordx2 v[14:15], v23, s[12:13] offset:96
	v_add_co_u32_e64 v1, s[0:1], s3, v7
	v_addc_co_u32_e64 v2, s[0:1], v8, v17, s[0:1]
	v_mad_u64_u32 v[17:18], s[0:1], s8, 48, v[1:2]
	global_load_dwordx2 v[3:4], v[3:4], off
	s_nop 0
	global_load_dwordx2 v[25:26], v23, s[12:13] offset:24
	global_load_dwordx2 v[27:28], v23, s[12:13] offset:48
	;; [unrolled: 1-line block ×3, first 2 shown]
	global_load_dwordx2 v[31:32], v[7:8], off
	global_load_dwordx2 v[33:34], v[1:2], off
	v_mov_b32_e32 v1, v18
	v_mad_u64_u32 v[1:2], s[0:1], s9, 48, v[1:2]
	global_load_dwordx2 v[7:8], v23, s[12:13] offset:120
	global_load_dwordx2 v[35:36], v23, s[12:13] offset:144
	global_load_dwordx2 v[37:38], v23, s[12:13] offset:168
	v_mov_b32_e32 v18, v1
	global_load_dwordx2 v[1:2], v[17:18], off
	v_add_co_u32_e64 v17, s[0:1], s3, v17
	v_addc_co_u32_e64 v18, s[0:1], v18, v9, s[0:1]
	global_load_dwordx2 v[39:40], v[17:18], off
	v_add_co_u32_e64 v17, s[0:1], s3, v17
	v_addc_co_u32_e64 v18, s[0:1], v18, v9, s[0:1]
	global_load_dwordx2 v[17:18], v[17:18], off
	s_waitcnt vmcnt(14)
	v_mul_f32_e32 v42, v12, v11
	v_mul_f32_e32 v41, v13, v11
	v_fma_f32 v42, v13, v10, -v42
	v_fmac_f32_e32 v41, v12, v10
	ds_write_b64 v19, v[41:42]
	s_waitcnt vmcnt(12)
	v_mul_f32_e32 v11, v5, v15
	v_mul_f32_e32 v9, v6, v15
	v_fma_f32 v10, v6, v14, -v11
	v_fmac_f32_e32 v9, v5, v14
	s_waitcnt vmcnt(10)
	v_mul_f32_e32 v6, v3, v26
	v_mul_f32_e32 v5, v4, v26
	v_fma_f32 v6, v4, v25, -v6
	v_fmac_f32_e32 v5, v3, v25
	s_waitcnt vmcnt(7)
	v_mul_f32_e32 v4, v31, v28
	v_mul_f32_e32 v3, v32, v28
	s_waitcnt vmcnt(6)
	v_mul_f32_e32 v12, v33, v30
	v_mul_f32_e32 v11, v34, v30
	v_fma_f32 v4, v32, v27, -v4
	v_fmac_f32_e32 v3, v31, v27
	v_fma_f32 v12, v34, v29, -v12
	v_fmac_f32_e32 v11, v33, v29
	ds_write_b64 v0, v[5:6] offset:24
	ds_write2_b64 v43, v[3:4], v[11:12] offset0:6 offset1:9
	s_waitcnt vmcnt(2)
	v_mul_f32_e32 v4, v1, v8
	v_mul_f32_e32 v3, v2, v8
	v_fma_f32 v4, v2, v7, -v4
	v_fmac_f32_e32 v3, v1, v7
	s_waitcnt vmcnt(1)
	v_mul_f32_e32 v1, v40, v36
	v_mul_f32_e32 v2, v39, v36
	ds_write2_b64 v43, v[9:10], v[3:4] offset0:12 offset1:15
	s_waitcnt vmcnt(0)
	v_mul_f32_e32 v3, v18, v38
	v_mul_f32_e32 v4, v17, v38
	v_fmac_f32_e32 v1, v39, v35
	v_fma_f32 v2, v40, v35, -v2
	v_fmac_f32_e32 v3, v17, v37
	v_fma_f32 v4, v18, v37, -v4
	ds_write2_b64 v43, v[1:2], v[3:4] offset0:18 offset1:21
.LBB0_3:
	s_or_b64 exec, exec, s[14:15]
	s_load_dwordx2 s[0:1], s[4:5], 0x20
	s_load_dwordx2 s[8:9], s[4:5], 0x8
	v_lshlrev_b32_e32 v17, 3, v24
	s_waitcnt lgkmcnt(0)
	s_barrier
	s_waitcnt lgkmcnt(0)
                                        ; implicit-def: $vgpr5
                                        ; implicit-def: $vgpr9
                                        ; implicit-def: $vgpr2
                                        ; implicit-def: $vgpr12
                                        ; implicit-def: $vgpr14
	s_and_saveexec_b64 s[2:3], vcc
	s_cbranch_execz .LBB0_5
; %bb.4:
	v_lshlrev_b32_e32 v1, 3, v16
	v_lshl_add_u32 v8, v22, 3, v17
	ds_read_b64 v[14:15], v1
	ds_read_b64 v[12:13], v0 offset:24
	ds_read2_b64 v[0:3], v8 offset0:6 offset1:9
	ds_read2_b64 v[4:7], v8 offset0:12 offset1:15
	;; [unrolled: 1-line block ×3, first 2 shown]
.LBB0_5:
	s_or_b64 exec, exec, s[2:3]
	s_waitcnt lgkmcnt(1)
	v_sub_f32_e32 v4, v14, v4
	v_sub_f32_e32 v5, v15, v5
	s_waitcnt lgkmcnt(0)
	v_sub_f32_e32 v8, v0, v8
	v_sub_f32_e32 v9, v1, v9
	v_fma_f32 v14, v14, 2.0, -v4
	v_fma_f32 v15, v15, 2.0, -v5
	;; [unrolled: 1-line block ×4, first 2 shown]
	v_sub_f32_e32 v6, v12, v6
	v_sub_f32_e32 v7, v13, v7
	;; [unrolled: 1-line block ×4, first 2 shown]
	v_fma_f32 v12, v12, 2.0, -v6
	v_fma_f32 v13, v13, 2.0, -v7
	;; [unrolled: 1-line block ×4, first 2 shown]
	v_sub_f32_e32 v1, v14, v0
	v_sub_f32_e32 v3, v15, v18
	v_fma_f32 v0, v14, 2.0, -v1
	v_fma_f32 v2, v15, 2.0, -v3
	v_sub_f32_e32 v14, v4, v9
	v_add_f32_e32 v15, v8, v5
	v_sub_f32_e32 v9, v12, v25
	v_sub_f32_e32 v8, v13, v26
	v_fma_f32 v18, v4, 2.0, -v14
	v_fma_f32 v19, v5, 2.0, -v15
	;; [unrolled: 1-line block ×4, first 2 shown]
	v_sub_f32_e32 v12, v6, v11
	v_add_f32_e32 v13, v10, v7
	v_fma_f32 v10, v6, 2.0, -v12
	v_fma_f32 v11, v7, 2.0, -v13
	v_mov_b32_e32 v6, v18
	v_mov_b32_e32 v7, v19
	v_fmac_f32_e32 v6, 0xbf3504f3, v10
	v_fmac_f32_e32 v7, 0xbf3504f3, v11
	;; [unrolled: 1-line block ×4, first 2 shown]
	v_mov_b32_e32 v10, v14
	v_mov_b32_e32 v11, v15
	v_fmac_f32_e32 v10, 0x3f3504f3, v12
	v_fmac_f32_e32 v11, 0x3f3504f3, v13
	;; [unrolled: 1-line block ×4, first 2 shown]
	v_sub_f32_e32 v4, v0, v4
	v_sub_f32_e32 v5, v2, v5
	;; [unrolled: 1-line block ×3, first 2 shown]
	v_add_f32_e32 v9, v9, v3
	v_fma_f32 v14, v14, 2.0, -v10
	v_fma_f32 v15, v15, 2.0, -v11
	s_barrier
	s_and_saveexec_b64 s[2:3], vcc
	s_cbranch_execz .LBB0_7
; %bb.6:
	v_fma_f32 v28, v19, 2.0, -v7
	v_fma_f32 v27, v18, 2.0, -v6
	;; [unrolled: 1-line block ×4, first 2 shown]
	v_add_lshl_u32 v0, v24, v23, 3
	v_fma_f32 v13, v3, 2.0, -v9
	v_fma_f32 v12, v1, 2.0, -v8
	ds_write_b128 v0, v[25:28]
	ds_write_b128 v0, v[12:15] offset:16
	ds_write_b128 v0, v[4:7] offset:32
	;; [unrolled: 1-line block ×3, first 2 shown]
.LBB0_7:
	s_or_b64 exec, exec, s[2:3]
	v_lshlrev_b32_e32 v0, 4, v22
	s_load_dwordx4 s[0:3], s[0:1], 0x0
	s_waitcnt lgkmcnt(0)
	s_barrier
	global_load_dwordx4 v[0:3], v0, s[8:9]
	v_lshlrev_b32_e32 v26, 3, v16
	ds_read2_b64 v[27:30], v26 offset1:8
	ds_read_b64 v[12:13], v26 offset:128
	v_lshl_add_u32 v25, v22, 3, v17
	s_waitcnt vmcnt(0) lgkmcnt(1)
	v_mul_f32_e32 v16, v30, v1
	v_mul_f32_e32 v17, v29, v1
	s_waitcnt lgkmcnt(0)
	v_mul_f32_e32 v18, v13, v3
	v_mul_f32_e32 v19, v12, v3
	v_fma_f32 v16, v29, v0, -v16
	v_fmac_f32_e32 v17, v30, v0
	v_fma_f32 v12, v12, v2, -v18
	v_fmac_f32_e32 v19, v13, v2
	v_add_f32_e32 v13, v27, v16
	v_add_f32_e32 v18, v16, v12
	v_sub_f32_e32 v29, v17, v19
	v_add_f32_e32 v30, v28, v17
	v_add_f32_e32 v17, v17, v19
	v_sub_f32_e32 v31, v16, v12
	v_add_f32_e32 v12, v13, v12
	v_fma_f32 v18, -0.5, v18, v27
	v_add_f32_e32 v13, v30, v19
	v_fma_f32 v19, -0.5, v17, v28
	v_mov_b32_e32 v16, v18
	v_mov_b32_e32 v17, v19
	v_fmac_f32_e32 v18, 0xbf5db3d7, v29
	v_fmac_f32_e32 v19, 0x3f5db3d7, v31
	;; [unrolled: 1-line block ×4, first 2 shown]
	ds_write_b64 v26, v[12:13]
	ds_write2_b64 v25, v[16:17], v[18:19] offset0:8 offset1:16
	s_waitcnt lgkmcnt(0)
	s_barrier
	s_and_saveexec_b64 s[4:5], vcc
	s_cbranch_execz .LBB0_9
; %bb.8:
	global_load_dwordx2 v[27:28], v23, s[12:13] offset:192
	s_add_u32 s8, s12, 0xc0
	s_addc_u32 s9, s13, 0
	global_load_dwordx2 v[39:40], v23, s[8:9] offset:24
	global_load_dwordx2 v[41:42], v23, s[8:9] offset:48
	;; [unrolled: 1-line block ×7, first 2 shown]
	ds_read_b64 v[29:30], v26
	s_waitcnt vmcnt(7) lgkmcnt(0)
	v_mul_f32_e32 v31, v30, v28
	v_mul_f32_e32 v32, v29, v28
	v_fma_f32 v31, v29, v27, -v31
	v_fmac_f32_e32 v32, v30, v27
	ds_write_b64 v26, v[31:32]
	ds_read2_b64 v[27:30], v25 offset0:3 offset1:6
	ds_read2_b64 v[31:34], v25 offset0:9 offset1:12
	;; [unrolled: 1-line block ×3, first 2 shown]
	ds_read_b64 v[53:54], v25 offset:168
	s_waitcnt vmcnt(6) lgkmcnt(3)
	v_mul_f32_e32 v55, v28, v40
	v_mul_f32_e32 v56, v27, v40
	s_waitcnt vmcnt(5)
	v_mul_f32_e32 v57, v30, v42
	v_mul_f32_e32 v40, v29, v42
	s_waitcnt vmcnt(4) lgkmcnt(2)
	v_mul_f32_e32 v58, v32, v44
	v_mul_f32_e32 v42, v31, v44
	s_waitcnt vmcnt(3)
	v_mul_f32_e32 v59, v34, v46
	v_mul_f32_e32 v44, v33, v46
	;; [unrolled: 6-line block ×3, first 2 shown]
	s_waitcnt vmcnt(0) lgkmcnt(0)
	v_mul_f32_e32 v62, v54, v52
	v_mul_f32_e32 v50, v53, v52
	v_fma_f32 v55, v27, v39, -v55
	v_fmac_f32_e32 v56, v28, v39
	v_fma_f32 v39, v29, v41, -v57
	v_fmac_f32_e32 v40, v30, v41
	;; [unrolled: 2-line block ×7, first 2 shown]
	ds_write2_b64 v25, v[55:56], v[39:40] offset0:3 offset1:6
	ds_write2_b64 v25, v[41:42], v[43:44] offset0:9 offset1:12
	;; [unrolled: 1-line block ×3, first 2 shown]
	ds_write_b64 v25, v[49:50] offset:168
.LBB0_9:
	s_or_b64 exec, exec, s[4:5]
	s_waitcnt lgkmcnt(0)
	s_barrier
	s_and_saveexec_b64 s[4:5], vcc
	s_cbranch_execz .LBB0_11
; %bb.10:
	ds_read2_b64 v[27:30], v25 offset0:9 offset1:12
	ds_read2_b64 v[16:19], v25 offset0:3 offset1:6
	;; [unrolled: 1-line block ×3, first 2 shown]
	ds_read_b64 v[12:13], v26
	ds_read_b64 v[10:11], v25 offset:168
	s_waitcnt lgkmcnt(4)
	v_mov_b32_e32 v5, v30
	v_mov_b32_e32 v4, v29
	;; [unrolled: 1-line block ×4, first 2 shown]
.LBB0_11:
	s_or_b64 exec, exec, s[4:5]
	s_waitcnt lgkmcnt(0)
	s_barrier
	s_and_saveexec_b64 s[4:5], vcc
	s_cbranch_execz .LBB0_13
; %bb.12:
	v_sub_f32_e32 v27, v13, v5
	v_sub_f32_e32 v9, v19, v9
	;; [unrolled: 1-line block ×6, first 2 shown]
	v_fma_f32 v13, v13, 2.0, -v27
	v_fma_f32 v4, v19, 2.0, -v9
	v_sub_f32_e32 v28, v27, v8
	v_sub_f32_e32 v29, v17, v7
	;; [unrolled: 1-line block ×3, first 2 shown]
	v_fma_f32 v16, v16, 2.0, -v32
	v_fma_f32 v4, v14, 2.0, -v5
	v_sub_f32_e32 v30, v29, v5
	v_mov_b32_e32 v7, v28
	v_sub_f32_e32 v31, v15, v11
	v_sub_f32_e32 v37, v16, v4
	v_fma_f32 v12, v12, 2.0, -v34
	v_fma_f32 v4, v18, 2.0, -v8
	;; [unrolled: 1-line block ×3, first 2 shown]
	v_fmac_f32_e32 v7, 0x3f3504f3, v30
	v_add_f32_e32 v33, v31, v32
	v_sub_f32_e32 v38, v12, v4
	v_fma_f32 v4, v15, 2.0, -v31
	v_fma_f32 v18, v29, 2.0, -v30
	v_mov_b32_e32 v15, v14
	v_fmac_f32_e32 v7, 0xbf3504f3, v33
	v_add_f32_e32 v35, v9, v34
	v_fmac_f32_e32 v15, 0xbf3504f3, v18
	v_fma_f32 v27, v32, 2.0, -v33
	v_fma_f32 v11, v28, 2.0, -v7
	;; [unrolled: 1-line block ×3, first 2 shown]
	v_fmac_f32_e32 v15, 0xbf3504f3, v27
	v_fma_f32 v28, v34, 2.0, -v35
	v_sub_f32_e32 v31, v17, v4
	v_fma_f32 v19, v14, 2.0, -v15
	v_mov_b32_e32 v14, v28
	v_fmac_f32_e32 v14, 0xbf3504f3, v27
	v_fma_f32 v27, v13, 2.0, -v36
	v_fma_f32 v13, v17, 2.0, -v31
	v_sub_f32_e32 v13, v27, v13
	v_mov_b32_e32 v6, v35
	v_fma_f32 v17, v27, 2.0, -v13
	v_fma_f32 v27, v12, 2.0, -v38
	;; [unrolled: 1-line block ×3, first 2 shown]
	v_fmac_f32_e32 v6, 0x3f3504f3, v33
	v_fmac_f32_e32 v14, 0x3f3504f3, v18
	v_sub_f32_e32 v12, v27, v12
	v_fmac_f32_e32 v6, 0x3f3504f3, v30
	v_sub_f32_e32 v5, v36, v37
	v_add_f32_e32 v4, v31, v38
	v_fma_f32 v18, v28, 2.0, -v14
	v_fma_f32 v16, v27, 2.0, -v12
	v_add_lshl_u32 v24, v24, v23, 3
	v_fma_f32 v10, v35, 2.0, -v6
	v_fma_f32 v9, v36, 2.0, -v5
	;; [unrolled: 1-line block ×3, first 2 shown]
	ds_write_b128 v24, v[16:19]
	ds_write_b128 v24, v[8:11] offset:16
	ds_write_b128 v24, v[12:15] offset:32
	;; [unrolled: 1-line block ×3, first 2 shown]
.LBB0_13:
	s_or_b64 exec, exec, s[4:5]
	s_waitcnt lgkmcnt(0)
	s_barrier
	ds_read2_b64 v[4:7], v26 offset1:8
	ds_read_b64 v[8:9], v26 offset:128
	s_waitcnt lgkmcnt(1)
	v_mul_f32_e32 v10, v1, v7
	v_mul_f32_e32 v1, v1, v6
	v_fmac_f32_e32 v10, v0, v6
	v_fma_f32 v6, v0, v7, -v1
	s_waitcnt lgkmcnt(0)
	v_mul_f32_e32 v7, v3, v9
	v_fmac_f32_e32 v7, v2, v8
	v_mul_f32_e32 v0, v3, v8
	v_add_f32_e32 v1, v10, v7
	v_fma_f32 v3, v2, v9, -v0
	v_fma_f32 v2, -0.5, v1, v4
	v_add_f32_e32 v0, v4, v10
	v_sub_f32_e32 v1, v6, v3
	v_mov_b32_e32 v4, v2
	v_fmac_f32_e32 v4, 0xbf5db3d7, v1
	v_fmac_f32_e32 v2, 0x3f5db3d7, v1
	v_add_f32_e32 v1, v5, v6
	v_add_f32_e32 v1, v1, v3
	;; [unrolled: 1-line block ×3, first 2 shown]
	v_fma_f32 v3, -0.5, v3, v5
	v_add_f32_e32 v0, v0, v7
	v_sub_f32_e32 v6, v10, v7
	v_mov_b32_e32 v5, v3
	v_fmac_f32_e32 v5, 0x3f5db3d7, v6
	v_fmac_f32_e32 v3, 0xbf5db3d7, v6
	ds_write_b64 v26, v[0:1]
	ds_write2_b64 v25, v[4:5], v[2:3] offset0:8 offset1:16
	s_waitcnt lgkmcnt(0)
	s_barrier
	s_and_b64 exec, exec, vcc
	s_cbranch_execz .LBB0_15
; %bb.14:
	global_load_dwordx2 v[8:9], v23, s[12:13]
	global_load_dwordx2 v[10:11], v23, s[12:13] offset:24
	global_load_dwordx2 v[12:13], v23, s[12:13] offset:48
	global_load_dwordx2 v[14:15], v23, s[12:13] offset:72
	global_load_dwordx2 v[16:17], v23, s[12:13] offset:96
	ds_read2_b64 v[0:3], v25 offset0:3 offset1:6
	ds_read2_b64 v[4:7], v25 offset0:9 offset1:12
	ds_read_b64 v[29:30], v26
	ds_read_b64 v[31:32], v25 offset:168
	global_load_dwordx2 v[33:34], v23, s[12:13] offset:120
	global_load_dwordx2 v[35:36], v23, s[12:13] offset:144
	;; [unrolled: 1-line block ×3, first 2 shown]
	v_mad_u64_u32 v[18:19], s[4:5], s2, v20, 0
	v_mad_u64_u32 v[27:28], s[8:9], s0, v22, 0
	v_mov_b32_e32 v24, s7
	s_mul_i32 s7, s1, 24
	s_mul_hi_u32 s8, s0, 24
	s_add_i32 s10, s8, s7
	v_mov_b32_e32 v23, v28
	v_mad_u64_u32 v[19:20], s[8:9], s3, v20, v[19:20]
	v_mad_u64_u32 v[22:23], s[8:9], s1, v22, v[23:24]
	v_lshlrev_b64 v[18:19], 3, v[18:19]
	s_mul_i32 s2, s0, 24
	v_mov_b32_e32 v28, v22
	v_lshlrev_b64 v[22:23], 3, v[27:28]
	v_add_co_u32_e32 v40, vcc, s6, v18
	v_addc_co_u32_e32 v24, vcc, v24, v19, vcc
	v_add_co_u32_e32 v18, vcc, v40, v22
	v_addc_co_u32_e32 v19, vcc, v24, v23, vcc
	v_mov_b32_e32 v20, s10
	v_add_co_u32_e32 v22, vcc, s2, v18
	v_addc_co_u32_e32 v23, vcc, v19, v20, vcc
	v_mov_b32_e32 v39, s10
	v_add_co_u32_e32 v26, vcc, s2, v22
	v_addc_co_u32_e32 v27, vcc, v23, v39, vcc
	s_mov_b32 s4, 0x55555555
	s_mov_b32 s5, 0x3fa55555
	s_waitcnt vmcnt(7) lgkmcnt(1)
	v_mul_f32_e32 v20, v30, v9
	v_mul_f32_e32 v9, v29, v9
	s_waitcnt vmcnt(6)
	v_mul_f32_e32 v28, v1, v11
	v_mul_f32_e32 v11, v0, v11
	s_waitcnt vmcnt(5)
	v_mul_f32_e32 v39, v3, v13
	v_mul_f32_e32 v13, v2, v13
	v_fmac_f32_e32 v20, v29, v8
	v_fma_f32 v8, v8, v30, -v9
	s_waitcnt vmcnt(4)
	v_mul_f32_e32 v41, v5, v15
	v_mul_f32_e32 v15, v4, v15
	s_waitcnt vmcnt(3)
	v_mul_f32_e32 v42, v7, v17
	v_mul_f32_e32 v17, v6, v17
	v_fmac_f32_e32 v28, v0, v10
	v_fma_f32 v9, v10, v1, -v11
	v_fmac_f32_e32 v39, v2, v12
	v_fma_f32 v10, v12, v3, -v13
	v_cvt_f64_f32_e32 v[0:1], v20
	v_cvt_f64_f32_e32 v[2:3], v8
	v_fmac_f32_e32 v41, v4, v14
	v_fma_f32 v14, v14, v5, -v15
	v_fmac_f32_e32 v42, v6, v16
	v_fma_f32 v29, v16, v7, -v17
	v_cvt_f64_f32_e32 v[4:5], v28
	v_cvt_f64_f32_e32 v[6:7], v9
	;; [unrolled: 1-line block ×4, first 2 shown]
	v_mul_f64 v[0:1], v[0:1], s[4:5]
	v_mul_f64 v[2:3], v[2:3], s[4:5]
	;; [unrolled: 1-line block ×6, first 2 shown]
	v_cvt_f64_f32_e32 v[12:13], v41
	v_cvt_f64_f32_e32 v[14:15], v14
	;; [unrolled: 1-line block ×3, first 2 shown]
	v_cvt_f32_f64_e32 v0, v[0:1]
	v_mul_f64 v[12:13], v[12:13], s[4:5]
	v_mul_f64 v[14:15], v[14:15], s[4:5]
	v_cvt_f32_f64_e32 v1, v[2:3]
	v_cvt_f32_f64_e32 v2, v[4:5]
	;; [unrolled: 1-line block ×5, first 2 shown]
	v_cvt_f64_f32_e32 v[28:29], v29
	global_store_dwordx2 v[18:19], v[0:1], off
	global_store_dwordx2 v[22:23], v[2:3], off
	;; [unrolled: 1-line block ×3, first 2 shown]
	v_mul_f64 v[0:1], v[16:17], s[4:5]
	v_cvt_f32_f64_e32 v6, v[12:13]
	v_cvt_f32_f64_e32 v7, v[14:15]
	v_mul_f64 v[4:5], v[28:29], s[4:5]
	v_mov_b32_e32 v2, s10
	v_add_co_u32_e32 v8, vcc, s2, v26
	v_addc_co_u32_e32 v9, vcc, v27, v2, vcc
	global_store_dwordx2 v[8:9], v[6:7], off
	v_mad_u64_u32 v[6:7], s[6:7], s0, v21, 0
	v_cvt_f32_f64_e32 v10, v[0:1]
	ds_read2_b64 v[0:3], v25 offset0:15 offset1:18
	v_cvt_f32_f64_e32 v11, v[4:5]
	v_mov_b32_e32 v4, v7
	v_mad_u64_u32 v[4:5], s[6:7], s1, v21, v[4:5]
	s_waitcnt vmcnt(6) lgkmcnt(0)
	v_mul_f32_e32 v5, v1, v34
	v_fmac_f32_e32 v5, v0, v33
	v_mul_f32_e32 v0, v0, v34
	v_fma_f32 v0, v33, v1, -v0
	v_cvt_f64_f32_e32 v[0:1], v0
	v_cvt_f64_f32_e32 v[12:13], v5
	v_mov_b32_e32 v7, v4
	v_lshlrev_b64 v[4:5], 3, v[6:7]
	v_mul_f64 v[0:1], v[0:1], s[4:5]
	v_mul_f64 v[6:7], v[12:13], s[4:5]
	v_mad_u64_u32 v[8:9], s[6:7], s0, 48, v[8:9]
	v_add_co_u32_e32 v4, vcc, v40, v4
	v_addc_co_u32_e32 v5, vcc, v24, v5, vcc
	global_store_dwordx2 v[4:5], v[10:11], off
	v_cvt_f32_f64_e32 v5, v[0:1]
	v_mov_b32_e32 v0, v9
	v_mad_u64_u32 v[0:1], s[0:1], s1, 48, v[0:1]
	s_waitcnt vmcnt(6)
	v_mul_f32_e32 v1, v3, v36
	v_fmac_f32_e32 v1, v2, v35
	v_cvt_f32_f64_e32 v4, v[6:7]
	v_cvt_f64_f32_e32 v[6:7], v1
	v_mul_f32_e32 v1, v2, v36
	v_fma_f32 v1, v35, v3, -v1
	v_cvt_f64_f32_e32 v[1:2], v1
	v_mov_b32_e32 v9, v0
	global_store_dwordx2 v[8:9], v[4:5], off
	v_mul_f64 v[3:4], v[6:7], s[4:5]
	v_mul_f64 v[0:1], v[1:2], s[4:5]
	s_waitcnt vmcnt(6)
	v_mul_f32_e32 v2, v32, v38
	v_fmac_f32_e32 v2, v31, v37
	v_cvt_f64_f32_e32 v[5:6], v2
	v_mul_f32_e32 v2, v31, v38
	v_fma_f32 v2, v37, v32, -v2
	v_cvt_f64_f32_e32 v[10:11], v2
	v_cvt_f32_f64_e32 v2, v[3:4]
	v_cvt_f32_f64_e32 v3, v[0:1]
	v_mul_f64 v[0:1], v[5:6], s[4:5]
	v_mul_f64 v[4:5], v[10:11], s[4:5]
	v_mov_b32_e32 v7, s10
	v_add_co_u32_e32 v6, vcc, s2, v8
	v_addc_co_u32_e32 v7, vcc, v9, v7, vcc
	global_store_dwordx2 v[6:7], v[2:3], off
	v_cvt_f32_f64_e32 v0, v[0:1]
	v_cvt_f32_f64_e32 v1, v[4:5]
	v_mov_b32_e32 v3, s10
	v_add_co_u32_e32 v2, vcc, s2, v6
	v_addc_co_u32_e32 v3, vcc, v7, v3, vcc
	global_store_dwordx2 v[2:3], v[0:1], off
.LBB0_15:
	s_endpgm
	.section	.rodata,"a",@progbits
	.p2align	6, 0x0
	.amdhsa_kernel bluestein_single_fwd_len24_dim1_sp_op_CI_CI
		.amdhsa_group_segment_fixed_size 6144
		.amdhsa_private_segment_fixed_size 0
		.amdhsa_kernarg_size 104
		.amdhsa_user_sgpr_count 6
		.amdhsa_user_sgpr_private_segment_buffer 1
		.amdhsa_user_sgpr_dispatch_ptr 0
		.amdhsa_user_sgpr_queue_ptr 0
		.amdhsa_user_sgpr_kernarg_segment_ptr 1
		.amdhsa_user_sgpr_dispatch_id 0
		.amdhsa_user_sgpr_flat_scratch_init 0
		.amdhsa_user_sgpr_private_segment_size 0
		.amdhsa_uses_dynamic_stack 0
		.amdhsa_system_sgpr_private_segment_wavefront_offset 0
		.amdhsa_system_sgpr_workgroup_id_x 1
		.amdhsa_system_sgpr_workgroup_id_y 0
		.amdhsa_system_sgpr_workgroup_id_z 0
		.amdhsa_system_sgpr_workgroup_info 0
		.amdhsa_system_vgpr_workitem_id 0
		.amdhsa_next_free_vgpr 63
		.amdhsa_next_free_sgpr 16
		.amdhsa_reserve_vcc 1
		.amdhsa_reserve_flat_scratch 0
		.amdhsa_float_round_mode_32 0
		.amdhsa_float_round_mode_16_64 0
		.amdhsa_float_denorm_mode_32 3
		.amdhsa_float_denorm_mode_16_64 3
		.amdhsa_dx10_clamp 1
		.amdhsa_ieee_mode 1
		.amdhsa_fp16_overflow 0
		.amdhsa_exception_fp_ieee_invalid_op 0
		.amdhsa_exception_fp_denorm_src 0
		.amdhsa_exception_fp_ieee_div_zero 0
		.amdhsa_exception_fp_ieee_overflow 0
		.amdhsa_exception_fp_ieee_underflow 0
		.amdhsa_exception_fp_ieee_inexact 0
		.amdhsa_exception_int_div_zero 0
	.end_amdhsa_kernel
	.text
.Lfunc_end0:
	.size	bluestein_single_fwd_len24_dim1_sp_op_CI_CI, .Lfunc_end0-bluestein_single_fwd_len24_dim1_sp_op_CI_CI
                                        ; -- End function
	.section	.AMDGPU.csdata,"",@progbits
; Kernel info:
; codeLenInByte = 3396
; NumSgprs: 20
; NumVgprs: 63
; ScratchSize: 0
; MemoryBound: 0
; FloatMode: 240
; IeeeMode: 1
; LDSByteSize: 6144 bytes/workgroup (compile time only)
; SGPRBlocks: 2
; VGPRBlocks: 15
; NumSGPRsForWavesPerEU: 20
; NumVGPRsForWavesPerEU: 63
; Occupancy: 4
; WaveLimiterHint : 1
; COMPUTE_PGM_RSRC2:SCRATCH_EN: 0
; COMPUTE_PGM_RSRC2:USER_SGPR: 6
; COMPUTE_PGM_RSRC2:TRAP_HANDLER: 0
; COMPUTE_PGM_RSRC2:TGID_X_EN: 1
; COMPUTE_PGM_RSRC2:TGID_Y_EN: 0
; COMPUTE_PGM_RSRC2:TGID_Z_EN: 0
; COMPUTE_PGM_RSRC2:TIDIG_COMP_CNT: 0
	.type	__hip_cuid_a65827843a18d39f,@object ; @__hip_cuid_a65827843a18d39f
	.section	.bss,"aw",@nobits
	.globl	__hip_cuid_a65827843a18d39f
__hip_cuid_a65827843a18d39f:
	.byte	0                               ; 0x0
	.size	__hip_cuid_a65827843a18d39f, 1

	.ident	"AMD clang version 19.0.0git (https://github.com/RadeonOpenCompute/llvm-project roc-6.4.0 25133 c7fe45cf4b819c5991fe208aaa96edf142730f1d)"
	.section	".note.GNU-stack","",@progbits
	.addrsig
	.addrsig_sym __hip_cuid_a65827843a18d39f
	.amdgpu_metadata
---
amdhsa.kernels:
  - .args:
      - .actual_access:  read_only
        .address_space:  global
        .offset:         0
        .size:           8
        .value_kind:     global_buffer
      - .actual_access:  read_only
        .address_space:  global
        .offset:         8
        .size:           8
        .value_kind:     global_buffer
      - .actual_access:  read_only
        .address_space:  global
        .offset:         16
        .size:           8
        .value_kind:     global_buffer
      - .actual_access:  read_only
        .address_space:  global
        .offset:         24
        .size:           8
        .value_kind:     global_buffer
      - .actual_access:  read_only
        .address_space:  global
        .offset:         32
        .size:           8
        .value_kind:     global_buffer
      - .offset:         40
        .size:           8
        .value_kind:     by_value
      - .address_space:  global
        .offset:         48
        .size:           8
        .value_kind:     global_buffer
      - .address_space:  global
        .offset:         56
        .size:           8
        .value_kind:     global_buffer
      - .address_space:  global
        .offset:         64
        .size:           8
        .value_kind:     global_buffer
      - .address_space:  global
        .offset:         72
        .size:           8
        .value_kind:     global_buffer
      - .offset:         80
        .size:           4
        .value_kind:     by_value
      - .address_space:  global
        .offset:         88
        .size:           8
        .value_kind:     global_buffer
      - .address_space:  global
        .offset:         96
        .size:           8
        .value_kind:     global_buffer
    .group_segment_fixed_size: 6144
    .kernarg_segment_align: 8
    .kernarg_segment_size: 104
    .language:       OpenCL C
    .language_version:
      - 2
      - 0
    .max_flat_workgroup_size: 256
    .name:           bluestein_single_fwd_len24_dim1_sp_op_CI_CI
    .private_segment_fixed_size: 0
    .sgpr_count:     20
    .sgpr_spill_count: 0
    .symbol:         bluestein_single_fwd_len24_dim1_sp_op_CI_CI.kd
    .uniform_work_group_size: 1
    .uses_dynamic_stack: false
    .vgpr_count:     63
    .vgpr_spill_count: 0
    .wavefront_size: 64
amdhsa.target:   amdgcn-amd-amdhsa--gfx906
amdhsa.version:
  - 1
  - 2
...

	.end_amdgpu_metadata
